;; amdgpu-corpus repo=ROCm/rocm-libraries kind=compiled arch=gfx1250 opt=O3
	.amdgcn_target "amdgcn-amd-amdhsa--gfx1250"
	.amdhsa_code_object_version 6
	.text
	.protected	Cat8FwdPacked           ; -- Begin function Cat8FwdPacked
	.globl	Cat8FwdPacked
	.p2align	8
	.type	Cat8FwdPacked,@function
Cat8FwdPacked:                          ; @Cat8FwdPacked
; %bb.0:
	s_clause 0x1
	s_load_u16 s2, s[0:1], 0xae
	s_load_b128 s[28:31], s[0:1], 0x88
	s_bfe_u32 s3, ttmp6, 0x40010
	s_bfe_u32 s4, ttmp6, 0x40004
	s_add_co_i32 s3, s3, 1
	s_getreg_b32 s33, hwreg(HW_REG_IB_STS2, 6, 4)
	s_mul_i32 s3, ttmp7, s3
	v_bfe_u32 v1, v0, 10, 10
	s_add_co_i32 s4, s4, s3
	s_cmp_eq_u32 s33, 0
	v_mov_b32_e32 v5, 0
	s_cselect_b32 s3, ttmp7, s4
	s_wait_kmcnt 0x0
	v_mad_u32 v4, s3, s2, v1
	s_mov_b32 s2, exec_lo
	s_delay_alu instid0(VALU_DEP_1)
	v_cmpx_gt_u64_e64 s[28:29], v[4:5]
	s_cbranch_execz .LBB0_80
; %bb.1:
	s_clause 0x2
	s_load_b64 s[2:3], s[0:1], 0x98
	s_load_b64 s[4:5], s[0:1], 0x40
	;; [unrolled: 1-line block ×3, first 2 shown]
	v_and_b32_e32 v5, 0x3ff, v0
	s_wait_kmcnt 0x0
	s_mul_u64 s[2:3], s[2:3], s[30:31]
	s_cmp_eq_u64 s[22:23], 0
	v_mad_nc_u64_u32 v[2:3], s2, v4, s[4:5]
	s_load_b512 s[4:19], s[0:1], 0x48
	s_delay_alu instid0(VALU_DEP_1)
	v_mad_u32 v3, s3, v4, v3
	s_add_nc_u64 s[2:3], s[0:1], 0xa0
	s_cbranch_scc1 .LBB0_11
; %bb.2:
	s_load_b32 s24, s[2:3], 0x0
	s_bfe_u32 s20, ttmp6, 0x4000c
	s_and_b32 s21, ttmp6, 15
	s_add_co_i32 s20, s20, 1
	s_wait_kmcnt 0x0
	s_mul_u64 s[4:5], s[30:31], s[4:5]
	s_mul_i32 s20, ttmp9, s20
	v_mad_nc_u64_u32 v[0:1], s4, v4, s[22:23]
	s_add_co_i32 s21, s21, s20
	s_cmp_eq_u32 s33, 0
	v_mov_b32_e32 v7, 0
	s_cselect_b32 s25, ttmp9, s21
	s_mov_b32 s21, 0
	s_delay_alu instid0(VALU_DEP_2) | instskip(SKIP_2) | instid1(SALU_CYCLE_1)
	v_mad_u32 v1, s5, v4, v1
	s_cmp_lt_u32 s25, s24
	s_cselect_b32 s20, 12, 18
	s_add_nc_u64 s[26:27], s[2:3], s[20:21]
	s_load_u16 s20, s[26:27], 0x0
	s_wait_kmcnt 0x0
	v_mad_u32 v6, s25, s20, v5
	s_mov_b32 s25, exec_lo
	s_delay_alu instid0(VALU_DEP_1) | instskip(NEXT) | instid1(VALU_DEP_1)
	v_lshlrev_b64_e32 v[6:7], 3, v[6:7]
	v_add_nc_u64_e32 v[8:9], 8, v[6:7]
	s_delay_alu instid0(VALU_DEP_1)
	v_cmpx_ge_u64_e64 s[4:5], v[8:9]
	s_cbranch_execz .LBB0_6
; %bb.3:
	s_mul_i32 s20, s24, s20
	s_delay_alu instid0(SALU_CYCLE_1)
	s_lshl_b64 s[22:23], s[20:21], 3
.LBB0_4:                                ; =>This Inner Loop Header: Depth=1
	v_add_nc_u64_e32 v[8:9], v[0:1], v[6:7]
	v_add_nc_u64_e32 v[10:11], v[2:3], v[6:7]
	;; [unrolled: 1-line block ×3, first 2 shown]
	global_load_b64 v[8:9], v[8:9], off
	v_add_nc_u64_e32 v[12:13], 8, v[6:7]
	s_delay_alu instid0(VALU_DEP_1)
	v_cmp_lt_u64_e32 vcc_lo, s[4:5], v[12:13]
	s_or_b32 s21, vcc_lo, s21
	s_wait_loadcnt 0x0
	global_store_b64 v[10:11], v[8:9], off
	s_wait_xcnt 0x0
	s_and_not1_b32 exec_lo, exec_lo, s21
	s_cbranch_execnz .LBB0_4
; %bb.5:
	s_or_b32 exec_lo, exec_lo, s21
.LBB0_6:
	s_delay_alu instid0(SALU_CYCLE_1) | instskip(SKIP_2) | instid1(VALU_DEP_1)
	s_or_b32 exec_lo, exec_lo, s25
	v_dual_mov_b32 v9, v7 :: v_dual_bitop2_b32 v8, 4, v6 bitop3:0x54
	s_mov_b32 s20, exec_lo
	v_cmpx_ge_u64_e64 s[4:5], v[8:9]
	s_cbranch_execz .LBB0_8
; %bb.7:
	v_add_nc_u64_e32 v[10:11], v[0:1], v[6:7]
	global_load_b32 v12, v[10:11], off
	s_wait_xcnt 0x0
	v_add_nc_u64_e32 v[10:11], v[2:3], v[6:7]
	v_mov_b64_e32 v[6:7], v[8:9]
	s_wait_loadcnt 0x0
	global_store_b32 v[10:11], v12, off
.LBB0_8:
	s_wait_xcnt 0x0
	s_or_b32 exec_lo, exec_lo, s20
	s_delay_alu instid0(SALU_CYCLE_1)
	s_mov_b32 s20, exec_lo
	v_cmpx_gt_u64_e64 s[4:5], v[6:7]
	s_cbranch_execz .LBB0_10
; %bb.9:
	v_add_nc_u64_e32 v[0:1], v[0:1], v[6:7]
	global_load_u16 v8, v[0:1], off
	s_wait_xcnt 0x0
	v_add_nc_u64_e32 v[0:1], v[2:3], v[6:7]
	s_wait_loadcnt 0x0
	global_store_b16 v[0:1], v8, off
.LBB0_10:
	s_wait_xcnt 0x0
	s_or_b32 exec_lo, exec_lo, s20
	v_add_nc_u64_e32 v[2:3], s[4:5], v[2:3]
.LBB0_11:
	s_clause 0x1
	s_load_b256 s[20:27], s[0:1], 0x8
	s_load_b128 s[36:39], s[0:1], 0x28
	s_wait_kmcnt 0x0
	s_load_b64 s[4:5], s[0:1], 0x38
	s_cmp_eq_u64 s[20:21], 0
	s_cbranch_scc1 .LBB0_21
; %bb.12:
	s_load_b32 s34, s[2:3], 0x0
	s_wait_xcnt 0x0
	s_bfe_u32 s0, ttmp6, 0x4000c
	s_and_b32 s1, ttmp6, 15
	s_add_co_i32 s0, s0, 1
	s_mov_b32 s29, 0
	s_mul_i32 s0, ttmp9, s0
	v_mov_b32_e32 v7, 0
	s_add_co_i32 s1, s1, s0
	s_cmp_eq_u32 s33, 0
	s_cselect_b32 s35, ttmp9, s1
	s_wait_kmcnt 0x0
	s_cmp_lt_u32 s35, s34
	s_cselect_b32 s28, 12, 18
	s_delay_alu instid0(SALU_CYCLE_1) | instskip(SKIP_3) | instid1(SALU_CYCLE_1)
	s_add_nc_u64 s[0:1], s[2:3], s[28:29]
	s_load_u16 s28, s[0:1], 0x0
	s_wait_xcnt 0x0
	s_mul_u64 s[0:1], s[30:31], s[6:7]
	v_mad_nc_u64_u32 v[0:1], s0, v4, s[20:21]
	s_mov_b32 s20, exec_lo
	s_delay_alu instid0(VALU_DEP_1) | instskip(SKIP_2) | instid1(VALU_DEP_1)
	v_mad_u32 v1, s1, v4, v1
	s_wait_kmcnt 0x0
	v_mad_u32 v6, s35, s28, v5
	v_lshlrev_b64_e32 v[6:7], 3, v[6:7]
	s_delay_alu instid0(VALU_DEP_1) | instskip(NEXT) | instid1(VALU_DEP_1)
	v_add_nc_u64_e32 v[8:9], 8, v[6:7]
	v_cmpx_ge_u64_e64 s[0:1], v[8:9]
	s_cbranch_execz .LBB0_16
; %bb.13:
	s_mul_i32 s28, s34, s28
	s_delay_alu instid0(SALU_CYCLE_1)
	s_lshl_b64 s[6:7], s[28:29], 3
.LBB0_14:                               ; =>This Inner Loop Header: Depth=1
	v_add_nc_u64_e32 v[8:9], v[0:1], v[6:7]
	v_add_nc_u64_e32 v[10:11], v[2:3], v[6:7]
	;; [unrolled: 1-line block ×3, first 2 shown]
	global_load_b64 v[8:9], v[8:9], off
	v_add_nc_u64_e32 v[12:13], 8, v[6:7]
	s_delay_alu instid0(VALU_DEP_1)
	v_cmp_lt_u64_e32 vcc_lo, s[0:1], v[12:13]
	s_or_b32 s29, vcc_lo, s29
	s_wait_loadcnt 0x0
	global_store_b64 v[10:11], v[8:9], off
	s_wait_xcnt 0x0
	s_and_not1_b32 exec_lo, exec_lo, s29
	s_cbranch_execnz .LBB0_14
; %bb.15:
	s_or_b32 exec_lo, exec_lo, s29
.LBB0_16:
	s_delay_alu instid0(SALU_CYCLE_1) | instskip(SKIP_2) | instid1(VALU_DEP_1)
	s_or_b32 exec_lo, exec_lo, s20
	v_dual_mov_b32 v9, v7 :: v_dual_bitop2_b32 v8, 4, v6 bitop3:0x54
	s_mov_b32 s6, exec_lo
	v_cmpx_ge_u64_e64 s[0:1], v[8:9]
	s_cbranch_execz .LBB0_18
; %bb.17:
	v_add_nc_u64_e32 v[10:11], v[0:1], v[6:7]
	global_load_b32 v12, v[10:11], off
	s_wait_xcnt 0x0
	v_add_nc_u64_e32 v[10:11], v[2:3], v[6:7]
	v_mov_b64_e32 v[6:7], v[8:9]
	s_wait_loadcnt 0x0
	global_store_b32 v[10:11], v12, off
.LBB0_18:
	s_wait_xcnt 0x0
	s_or_b32 exec_lo, exec_lo, s6
	s_delay_alu instid0(SALU_CYCLE_1)
	s_mov_b32 s6, exec_lo
	v_cmpx_gt_u64_e64 s[0:1], v[6:7]
	s_cbranch_execz .LBB0_20
; %bb.19:
	v_add_nc_u64_e32 v[0:1], v[0:1], v[6:7]
	global_load_u16 v8, v[0:1], off
	s_wait_xcnt 0x0
	v_add_nc_u64_e32 v[0:1], v[2:3], v[6:7]
	s_wait_loadcnt 0x0
	global_store_b16 v[0:1], v8, off
.LBB0_20:
	s_wait_xcnt 0x0
	s_or_b32 exec_lo, exec_lo, s6
	v_add_nc_u64_e32 v[2:3], s[0:1], v[2:3]
.LBB0_21:
	s_cmp_eq_u64 s[22:23], 0
	s_cbranch_scc1 .LBB0_31
; %bb.22:
	s_load_b32 s20, s[2:3], 0x0
	s_wait_xcnt 0x0
	s_bfe_u32 s0, ttmp6, 0x4000c
	s_and_b32 s1, ttmp6, 15
	s_add_co_i32 s0, s0, 1
	s_mov_b32 s7, 0
	s_mul_i32 s0, ttmp9, s0
	v_mov_b32_e32 v7, 0
	s_add_co_i32 s1, s1, s0
	s_cmp_eq_u32 s33, 0
	s_cselect_b32 s21, ttmp9, s1
	s_wait_kmcnt 0x0
	s_cmp_lt_u32 s21, s20
	s_cselect_b32 s6, 12, 18
	s_delay_alu instid0(SALU_CYCLE_1) | instskip(SKIP_3) | instid1(SALU_CYCLE_1)
	s_add_nc_u64 s[0:1], s[2:3], s[6:7]
	s_load_u16 s6, s[0:1], 0x0
	s_wait_xcnt 0x0
	s_mul_u64 s[0:1], s[30:31], s[8:9]
	v_mad_nc_u64_u32 v[0:1], s0, v4, s[22:23]
	s_delay_alu instid0(VALU_DEP_1) | instskip(SKIP_3) | instid1(VALU_DEP_1)
	v_mad_u32 v1, s1, v4, v1
	s_wait_kmcnt 0x0
	v_mad_u32 v6, s21, s6, v5
	s_mov_b32 s21, exec_lo
	v_lshlrev_b64_e32 v[6:7], 3, v[6:7]
	s_delay_alu instid0(VALU_DEP_1) | instskip(NEXT) | instid1(VALU_DEP_1)
	v_add_nc_u64_e32 v[8:9], 8, v[6:7]
	v_cmpx_ge_u64_e64 s[0:1], v[8:9]
	s_cbranch_execz .LBB0_26
; %bb.23:
	s_mul_i32 s6, s20, s6
	s_delay_alu instid0(SALU_CYCLE_1)
	s_lshl_b64 s[8:9], s[6:7], 3
.LBB0_24:                               ; =>This Inner Loop Header: Depth=1
	v_add_nc_u64_e32 v[8:9], v[0:1], v[6:7]
	v_add_nc_u64_e32 v[10:11], v[2:3], v[6:7]
	;; [unrolled: 1-line block ×3, first 2 shown]
	global_load_b64 v[8:9], v[8:9], off
	v_add_nc_u64_e32 v[12:13], 8, v[6:7]
	s_delay_alu instid0(VALU_DEP_1)
	v_cmp_lt_u64_e32 vcc_lo, s[0:1], v[12:13]
	s_or_b32 s7, vcc_lo, s7
	s_wait_loadcnt 0x0
	global_store_b64 v[10:11], v[8:9], off
	s_wait_xcnt 0x0
	s_and_not1_b32 exec_lo, exec_lo, s7
	s_cbranch_execnz .LBB0_24
; %bb.25:
	s_or_b32 exec_lo, exec_lo, s7
.LBB0_26:
	s_delay_alu instid0(SALU_CYCLE_1) | instskip(SKIP_2) | instid1(VALU_DEP_1)
	s_or_b32 exec_lo, exec_lo, s21
	v_dual_mov_b32 v9, v7 :: v_dual_bitop2_b32 v8, 4, v6 bitop3:0x54
	s_mov_b32 s6, exec_lo
	v_cmpx_ge_u64_e64 s[0:1], v[8:9]
	s_cbranch_execz .LBB0_28
; %bb.27:
	v_add_nc_u64_e32 v[10:11], v[0:1], v[6:7]
	global_load_b32 v12, v[10:11], off
	s_wait_xcnt 0x0
	v_add_nc_u64_e32 v[10:11], v[2:3], v[6:7]
	v_mov_b64_e32 v[6:7], v[8:9]
	s_wait_loadcnt 0x0
	global_store_b32 v[10:11], v12, off
.LBB0_28:
	s_wait_xcnt 0x0
	s_or_b32 exec_lo, exec_lo, s6
	s_delay_alu instid0(SALU_CYCLE_1)
	s_mov_b32 s6, exec_lo
	v_cmpx_gt_u64_e64 s[0:1], v[6:7]
	s_cbranch_execz .LBB0_30
; %bb.29:
	v_add_nc_u64_e32 v[0:1], v[0:1], v[6:7]
	global_load_u16 v8, v[0:1], off
	s_wait_xcnt 0x0
	v_add_nc_u64_e32 v[0:1], v[2:3], v[6:7]
	s_wait_loadcnt 0x0
	global_store_b16 v[0:1], v8, off
.LBB0_30:
	s_wait_xcnt 0x0
	s_or_b32 exec_lo, exec_lo, s6
	v_add_nc_u64_e32 v[2:3], s[0:1], v[2:3]
.LBB0_31:
	s_cmp_eq_u64 s[24:25], 0
	s_cbranch_scc1 .LBB0_41
; %bb.32:
	s_load_b32 s8, s[2:3], 0x0
	s_wait_xcnt 0x0
	s_bfe_u32 s0, ttmp6, 0x4000c
	s_and_b32 s1, ttmp6, 15
	s_add_co_i32 s0, s0, 1
	s_mov_b32 s7, 0
	s_mul_i32 s0, ttmp9, s0
	v_mov_b32_e32 v7, 0
	s_add_co_i32 s1, s1, s0
	s_cmp_eq_u32 s33, 0
	s_cselect_b32 s9, ttmp9, s1
	s_wait_kmcnt 0x0
	s_cmp_lt_u32 s9, s8
	s_cselect_b32 s6, 12, 18
	s_delay_alu instid0(SALU_CYCLE_1)
	s_add_nc_u64 s[0:1], s[2:3], s[6:7]
	s_load_u16 s6, s[0:1], 0x0
	s_wait_xcnt 0x0
	s_mul_u64 s[0:1], s[30:31], s[10:11]
	s_mov_b32 s10, exec_lo
	v_mad_nc_u64_u32 v[0:1], s0, v4, s[24:25]
	s_delay_alu instid0(VALU_DEP_1) | instskip(SKIP_2) | instid1(VALU_DEP_1)
	v_mad_u32 v1, s1, v4, v1
	s_wait_kmcnt 0x0
	v_mad_u32 v6, s9, s6, v5
	v_lshlrev_b64_e32 v[6:7], 3, v[6:7]
	s_delay_alu instid0(VALU_DEP_1) | instskip(NEXT) | instid1(VALU_DEP_1)
	v_add_nc_u64_e32 v[8:9], 8, v[6:7]
	v_cmpx_ge_u64_e64 s[0:1], v[8:9]
	s_cbranch_execz .LBB0_36
; %bb.33:
	s_mul_i32 s6, s8, s6
	s_delay_alu instid0(SALU_CYCLE_1)
	s_lshl_b64 s[8:9], s[6:7], 3
.LBB0_34:                               ; =>This Inner Loop Header: Depth=1
	v_add_nc_u64_e32 v[8:9], v[0:1], v[6:7]
	v_add_nc_u64_e32 v[10:11], v[2:3], v[6:7]
	v_add_nc_u64_e32 v[6:7], s[8:9], v[6:7]
	global_load_b64 v[8:9], v[8:9], off
	v_add_nc_u64_e32 v[12:13], 8, v[6:7]
	s_delay_alu instid0(VALU_DEP_1)
	v_cmp_lt_u64_e32 vcc_lo, s[0:1], v[12:13]
	s_or_b32 s7, vcc_lo, s7
	s_wait_loadcnt 0x0
	global_store_b64 v[10:11], v[8:9], off
	s_wait_xcnt 0x0
	s_and_not1_b32 exec_lo, exec_lo, s7
	s_cbranch_execnz .LBB0_34
; %bb.35:
	s_or_b32 exec_lo, exec_lo, s7
.LBB0_36:
	s_delay_alu instid0(SALU_CYCLE_1) | instskip(SKIP_2) | instid1(VALU_DEP_1)
	s_or_b32 exec_lo, exec_lo, s10
	v_dual_mov_b32 v9, v7 :: v_dual_bitop2_b32 v8, 4, v6 bitop3:0x54
	s_mov_b32 s6, exec_lo
	v_cmpx_ge_u64_e64 s[0:1], v[8:9]
	s_cbranch_execz .LBB0_38
; %bb.37:
	v_add_nc_u64_e32 v[10:11], v[0:1], v[6:7]
	global_load_b32 v12, v[10:11], off
	s_wait_xcnt 0x0
	v_add_nc_u64_e32 v[10:11], v[2:3], v[6:7]
	v_mov_b64_e32 v[6:7], v[8:9]
	s_wait_loadcnt 0x0
	global_store_b32 v[10:11], v12, off
.LBB0_38:
	s_wait_xcnt 0x0
	s_or_b32 exec_lo, exec_lo, s6
	s_delay_alu instid0(SALU_CYCLE_1)
	s_mov_b32 s6, exec_lo
	v_cmpx_gt_u64_e64 s[0:1], v[6:7]
	s_cbranch_execz .LBB0_40
; %bb.39:
	v_add_nc_u64_e32 v[0:1], v[0:1], v[6:7]
	global_load_u16 v8, v[0:1], off
	s_wait_xcnt 0x0
	v_add_nc_u64_e32 v[0:1], v[2:3], v[6:7]
	s_wait_loadcnt 0x0
	global_store_b16 v[0:1], v8, off
.LBB0_40:
	s_wait_xcnt 0x0
	s_or_b32 exec_lo, exec_lo, s6
	v_add_nc_u64_e32 v[2:3], s[0:1], v[2:3]
.LBB0_41:
	s_cmp_eq_u64 s[26:27], 0
	s_cbranch_scc1 .LBB0_51
; %bb.42:
	s_load_b32 s8, s[2:3], 0x0
	s_wait_xcnt 0x0
	s_bfe_u32 s0, ttmp6, 0x4000c
	s_and_b32 s1, ttmp6, 15
	s_add_co_i32 s0, s0, 1
	s_mov_b32 s7, 0
	s_mul_i32 s0, ttmp9, s0
	v_mov_b32_e32 v7, 0
	s_add_co_i32 s1, s1, s0
	s_cmp_eq_u32 s33, 0
	s_mov_b32 s10, exec_lo
	s_cselect_b32 s9, ttmp9, s1
	s_wait_kmcnt 0x0
	s_cmp_lt_u32 s9, s8
	s_cselect_b32 s6, 12, 18
	s_delay_alu instid0(SALU_CYCLE_1) | instskip(SKIP_3) | instid1(SALU_CYCLE_1)
	s_add_nc_u64 s[0:1], s[2:3], s[6:7]
	s_load_u16 s6, s[0:1], 0x0
	s_wait_xcnt 0x0
	s_mul_u64 s[0:1], s[30:31], s[12:13]
	v_mad_nc_u64_u32 v[0:1], s0, v4, s[26:27]
	s_delay_alu instid0(VALU_DEP_1) | instskip(SKIP_2) | instid1(VALU_DEP_1)
	v_mad_u32 v1, s1, v4, v1
	s_wait_kmcnt 0x0
	v_mad_u32 v6, s9, s6, v5
	v_lshlrev_b64_e32 v[6:7], 3, v[6:7]
	s_delay_alu instid0(VALU_DEP_1) | instskip(NEXT) | instid1(VALU_DEP_1)
	v_add_nc_u64_e32 v[8:9], 8, v[6:7]
	v_cmpx_ge_u64_e64 s[0:1], v[8:9]
	s_cbranch_execz .LBB0_46
; %bb.43:
	s_mul_i32 s6, s8, s6
	s_delay_alu instid0(SALU_CYCLE_1)
	s_lshl_b64 s[8:9], s[6:7], 3
.LBB0_44:                               ; =>This Inner Loop Header: Depth=1
	v_add_nc_u64_e32 v[8:9], v[0:1], v[6:7]
	v_add_nc_u64_e32 v[10:11], v[2:3], v[6:7]
	;; [unrolled: 1-line block ×3, first 2 shown]
	global_load_b64 v[8:9], v[8:9], off
	v_add_nc_u64_e32 v[12:13], 8, v[6:7]
	s_delay_alu instid0(VALU_DEP_1)
	v_cmp_lt_u64_e32 vcc_lo, s[0:1], v[12:13]
	s_or_b32 s7, vcc_lo, s7
	s_wait_loadcnt 0x0
	global_store_b64 v[10:11], v[8:9], off
	s_wait_xcnt 0x0
	s_and_not1_b32 exec_lo, exec_lo, s7
	s_cbranch_execnz .LBB0_44
; %bb.45:
	s_or_b32 exec_lo, exec_lo, s7
.LBB0_46:
	s_delay_alu instid0(SALU_CYCLE_1) | instskip(SKIP_2) | instid1(VALU_DEP_1)
	s_or_b32 exec_lo, exec_lo, s10
	v_dual_mov_b32 v9, v7 :: v_dual_bitop2_b32 v8, 4, v6 bitop3:0x54
	s_mov_b32 s6, exec_lo
	v_cmpx_ge_u64_e64 s[0:1], v[8:9]
	s_cbranch_execz .LBB0_48
; %bb.47:
	v_add_nc_u64_e32 v[10:11], v[0:1], v[6:7]
	global_load_b32 v12, v[10:11], off
	s_wait_xcnt 0x0
	v_add_nc_u64_e32 v[10:11], v[2:3], v[6:7]
	v_mov_b64_e32 v[6:7], v[8:9]
	s_wait_loadcnt 0x0
	global_store_b32 v[10:11], v12, off
.LBB0_48:
	s_wait_xcnt 0x0
	s_or_b32 exec_lo, exec_lo, s6
	s_delay_alu instid0(SALU_CYCLE_1)
	s_mov_b32 s6, exec_lo
	v_cmpx_gt_u64_e64 s[0:1], v[6:7]
	s_cbranch_execz .LBB0_50
; %bb.49:
	v_add_nc_u64_e32 v[0:1], v[0:1], v[6:7]
	global_load_u16 v8, v[0:1], off
	s_wait_xcnt 0x0
	v_add_nc_u64_e32 v[0:1], v[2:3], v[6:7]
	s_wait_loadcnt 0x0
	global_store_b16 v[0:1], v8, off
.LBB0_50:
	s_wait_xcnt 0x0
	s_or_b32 exec_lo, exec_lo, s6
	v_add_nc_u64_e32 v[2:3], s[0:1], v[2:3]
.LBB0_51:
	s_cmp_eq_u64 s[36:37], 0
	s_cbranch_scc1 .LBB0_61
; %bb.52:
	s_load_b32 s8, s[2:3], 0x0
	s_wait_xcnt 0x0
	s_bfe_u32 s0, ttmp6, 0x4000c
	s_and_b32 s1, ttmp6, 15
	s_add_co_i32 s0, s0, 1
	s_mov_b32 s7, 0
	s_mul_i32 s0, ttmp9, s0
	v_mov_b32_e32 v7, 0
	s_add_co_i32 s1, s1, s0
	s_cmp_eq_u32 s33, 0
	s_mov_b32 s10, exec_lo
	s_cselect_b32 s9, ttmp9, s1
	s_wait_kmcnt 0x0
	s_cmp_lt_u32 s9, s8
	s_cselect_b32 s6, 12, 18
	s_delay_alu instid0(SALU_CYCLE_1) | instskip(SKIP_3) | instid1(SALU_CYCLE_1)
	s_add_nc_u64 s[0:1], s[2:3], s[6:7]
	s_load_u16 s6, s[0:1], 0x0
	s_wait_xcnt 0x0
	s_mul_u64 s[0:1], s[30:31], s[14:15]
	v_mad_nc_u64_u32 v[0:1], s0, v4, s[36:37]
	s_delay_alu instid0(VALU_DEP_1) | instskip(SKIP_2) | instid1(VALU_DEP_1)
	v_mad_u32 v1, s1, v4, v1
	s_wait_kmcnt 0x0
	v_mad_u32 v6, s9, s6, v5
	v_lshlrev_b64_e32 v[6:7], 3, v[6:7]
	s_delay_alu instid0(VALU_DEP_1) | instskip(NEXT) | instid1(VALU_DEP_1)
	v_add_nc_u64_e32 v[8:9], 8, v[6:7]
	v_cmpx_ge_u64_e64 s[0:1], v[8:9]
	s_cbranch_execz .LBB0_56
; %bb.53:
	s_mul_i32 s6, s8, s6
	s_delay_alu instid0(SALU_CYCLE_1)
	s_lshl_b64 s[8:9], s[6:7], 3
.LBB0_54:                               ; =>This Inner Loop Header: Depth=1
	v_add_nc_u64_e32 v[8:9], v[0:1], v[6:7]
	v_add_nc_u64_e32 v[10:11], v[2:3], v[6:7]
	;; [unrolled: 1-line block ×3, first 2 shown]
	global_load_b64 v[8:9], v[8:9], off
	v_add_nc_u64_e32 v[12:13], 8, v[6:7]
	s_delay_alu instid0(VALU_DEP_1)
	v_cmp_lt_u64_e32 vcc_lo, s[0:1], v[12:13]
	s_or_b32 s7, vcc_lo, s7
	s_wait_loadcnt 0x0
	global_store_b64 v[10:11], v[8:9], off
	s_wait_xcnt 0x0
	s_and_not1_b32 exec_lo, exec_lo, s7
	s_cbranch_execnz .LBB0_54
; %bb.55:
	s_or_b32 exec_lo, exec_lo, s7
.LBB0_56:
	s_delay_alu instid0(SALU_CYCLE_1) | instskip(SKIP_2) | instid1(VALU_DEP_1)
	s_or_b32 exec_lo, exec_lo, s10
	v_dual_mov_b32 v9, v7 :: v_dual_bitop2_b32 v8, 4, v6 bitop3:0x54
	s_mov_b32 s6, exec_lo
	v_cmpx_ge_u64_e64 s[0:1], v[8:9]
	s_cbranch_execz .LBB0_58
; %bb.57:
	v_add_nc_u64_e32 v[10:11], v[0:1], v[6:7]
	global_load_b32 v12, v[10:11], off
	s_wait_xcnt 0x0
	v_add_nc_u64_e32 v[10:11], v[2:3], v[6:7]
	v_mov_b64_e32 v[6:7], v[8:9]
	s_wait_loadcnt 0x0
	global_store_b32 v[10:11], v12, off
.LBB0_58:
	s_wait_xcnt 0x0
	s_or_b32 exec_lo, exec_lo, s6
	s_delay_alu instid0(SALU_CYCLE_1)
	s_mov_b32 s6, exec_lo
	v_cmpx_gt_u64_e64 s[0:1], v[6:7]
	s_cbranch_execz .LBB0_60
; %bb.59:
	v_add_nc_u64_e32 v[0:1], v[0:1], v[6:7]
	global_load_u16 v8, v[0:1], off
	s_wait_xcnt 0x0
	v_add_nc_u64_e32 v[0:1], v[2:3], v[6:7]
	s_wait_loadcnt 0x0
	global_store_b16 v[0:1], v8, off
.LBB0_60:
	s_wait_xcnt 0x0
	s_or_b32 exec_lo, exec_lo, s6
	v_add_nc_u64_e32 v[2:3], s[0:1], v[2:3]
.LBB0_61:
	s_cmp_eq_u64 s[38:39], 0
	s_cbranch_scc1 .LBB0_71
; %bb.62:
	s_load_b32 s8, s[2:3], 0x0
	s_wait_xcnt 0x0
	s_bfe_u32 s0, ttmp6, 0x4000c
	s_and_b32 s1, ttmp6, 15
	s_add_co_i32 s0, s0, 1
	s_mov_b32 s7, 0
	s_mul_i32 s0, ttmp9, s0
	v_mov_b32_e32 v7, 0
	s_add_co_i32 s1, s1, s0
	s_cmp_eq_u32 s33, 0
	s_mov_b32 s10, exec_lo
	s_cselect_b32 s9, ttmp9, s1
	s_wait_kmcnt 0x0
	s_cmp_lt_u32 s9, s8
	s_cselect_b32 s6, 12, 18
	s_delay_alu instid0(SALU_CYCLE_1) | instskip(SKIP_3) | instid1(SALU_CYCLE_1)
	s_add_nc_u64 s[0:1], s[2:3], s[6:7]
	s_load_u16 s6, s[0:1], 0x0
	s_wait_xcnt 0x0
	s_mul_u64 s[0:1], s[30:31], s[16:17]
	v_mad_nc_u64_u32 v[0:1], s0, v4, s[38:39]
	s_delay_alu instid0(VALU_DEP_1) | instskip(SKIP_2) | instid1(VALU_DEP_1)
	v_mad_u32 v1, s1, v4, v1
	s_wait_kmcnt 0x0
	v_mad_u32 v6, s9, s6, v5
	v_lshlrev_b64_e32 v[6:7], 3, v[6:7]
	s_delay_alu instid0(VALU_DEP_1) | instskip(NEXT) | instid1(VALU_DEP_1)
	v_add_nc_u64_e32 v[8:9], 8, v[6:7]
	v_cmpx_ge_u64_e64 s[0:1], v[8:9]
	s_cbranch_execz .LBB0_66
; %bb.63:
	s_mul_i32 s6, s8, s6
	s_delay_alu instid0(SALU_CYCLE_1)
	s_lshl_b64 s[8:9], s[6:7], 3
.LBB0_64:                               ; =>This Inner Loop Header: Depth=1
	v_add_nc_u64_e32 v[8:9], v[0:1], v[6:7]
	v_add_nc_u64_e32 v[10:11], v[2:3], v[6:7]
	;; [unrolled: 1-line block ×3, first 2 shown]
	global_load_b64 v[8:9], v[8:9], off
	v_add_nc_u64_e32 v[12:13], 8, v[6:7]
	s_delay_alu instid0(VALU_DEP_1)
	v_cmp_lt_u64_e32 vcc_lo, s[0:1], v[12:13]
	s_or_b32 s7, vcc_lo, s7
	s_wait_loadcnt 0x0
	global_store_b64 v[10:11], v[8:9], off
	s_wait_xcnt 0x0
	s_and_not1_b32 exec_lo, exec_lo, s7
	s_cbranch_execnz .LBB0_64
; %bb.65:
	s_or_b32 exec_lo, exec_lo, s7
.LBB0_66:
	s_delay_alu instid0(SALU_CYCLE_1) | instskip(SKIP_2) | instid1(VALU_DEP_1)
	s_or_b32 exec_lo, exec_lo, s10
	v_dual_mov_b32 v9, v7 :: v_dual_bitop2_b32 v8, 4, v6 bitop3:0x54
	s_mov_b32 s6, exec_lo
	v_cmpx_ge_u64_e64 s[0:1], v[8:9]
	s_cbranch_execz .LBB0_68
; %bb.67:
	v_add_nc_u64_e32 v[10:11], v[0:1], v[6:7]
	global_load_b32 v12, v[10:11], off
	s_wait_xcnt 0x0
	v_add_nc_u64_e32 v[10:11], v[2:3], v[6:7]
	v_mov_b64_e32 v[6:7], v[8:9]
	s_wait_loadcnt 0x0
	global_store_b32 v[10:11], v12, off
.LBB0_68:
	s_wait_xcnt 0x0
	s_or_b32 exec_lo, exec_lo, s6
	s_delay_alu instid0(SALU_CYCLE_1)
	s_mov_b32 s6, exec_lo
	v_cmpx_gt_u64_e64 s[0:1], v[6:7]
	s_cbranch_execz .LBB0_70
; %bb.69:
	v_add_nc_u64_e32 v[0:1], v[0:1], v[6:7]
	global_load_u16 v8, v[0:1], off
	s_wait_xcnt 0x0
	v_add_nc_u64_e32 v[0:1], v[2:3], v[6:7]
	s_wait_loadcnt 0x0
	global_store_b16 v[0:1], v8, off
.LBB0_70:
	s_wait_xcnt 0x0
	s_or_b32 exec_lo, exec_lo, s6
	v_add_nc_u64_e32 v[2:3], s[0:1], v[2:3]
.LBB0_71:
	s_wait_kmcnt 0x0
	s_cmp_eq_u64 s[4:5], 0
	s_cbranch_scc1 .LBB0_80
; %bb.72:
	s_load_b32 s8, s[2:3], 0x0
	s_bfe_u32 s0, ttmp6, 0x4000c
	s_and_b32 s1, ttmp6, 15
	s_add_co_i32 s0, s0, 1
	s_mov_b32 s7, 0
	s_mul_i32 s0, ttmp9, s0
	v_mov_b32_e32 v7, 0
	s_add_co_i32 s1, s1, s0
	s_cmp_eq_u32 s33, 0
	s_cselect_b32 s9, ttmp9, s1
	s_wait_kmcnt 0x0
	s_cmp_lt_u32 s9, s8
	s_cselect_b32 s6, 12, 18
	s_delay_alu instid0(SALU_CYCLE_1) | instskip(SKIP_3) | instid1(SALU_CYCLE_1)
	s_add_nc_u64 s[0:1], s[2:3], s[6:7]
	s_load_u16 s2, s[0:1], 0x0
	s_wait_xcnt 0x0
	s_mul_u64 s[0:1], s[30:31], s[18:19]
	v_mad_nc_u64_u32 v[0:1], s0, v4, s[4:5]
	s_mov_b32 s4, exec_lo
	s_delay_alu instid0(VALU_DEP_1) | instskip(SKIP_2) | instid1(VALU_DEP_1)
	v_mad_u32 v1, s1, v4, v1
	s_wait_kmcnt 0x0
	v_mad_u32 v6, s9, s2, v5
	v_lshlrev_b64_e32 v[6:7], 3, v[6:7]
	s_delay_alu instid0(VALU_DEP_1) | instskip(NEXT) | instid1(VALU_DEP_1)
	v_add_nc_u64_e32 v[8:9], 8, v[6:7]
	v_cmpx_ge_u64_e64 s[0:1], v[8:9]
	s_cbranch_execz .LBB0_76
; %bb.73:
	s_mul_i32 s6, s8, s2
	s_delay_alu instid0(SALU_CYCLE_1)
	s_lshl_b64 s[2:3], s[6:7], 3
.LBB0_74:                               ; =>This Inner Loop Header: Depth=1
	v_add_nc_u64_e32 v[4:5], v[0:1], v[6:7]
	v_add_nc_u64_e32 v[8:9], v[2:3], v[6:7]
	;; [unrolled: 1-line block ×3, first 2 shown]
	global_load_b64 v[4:5], v[4:5], off
	v_add_nc_u64_e32 v[10:11], 8, v[6:7]
	s_delay_alu instid0(VALU_DEP_1)
	v_cmp_lt_u64_e32 vcc_lo, s[0:1], v[10:11]
	s_or_b32 s7, vcc_lo, s7
	s_wait_loadcnt 0x0
	global_store_b64 v[8:9], v[4:5], off
	s_wait_xcnt 0x0
	s_and_not1_b32 exec_lo, exec_lo, s7
	s_cbranch_execnz .LBB0_74
; %bb.75:
	s_or_b32 exec_lo, exec_lo, s7
.LBB0_76:
	s_delay_alu instid0(SALU_CYCLE_1) | instskip(SKIP_2) | instid1(VALU_DEP_1)
	s_or_b32 exec_lo, exec_lo, s4
	v_dual_mov_b32 v5, v7 :: v_dual_bitop2_b32 v4, 4, v6 bitop3:0x54
	s_mov_b32 s2, exec_lo
	v_cmpx_ge_u64_e64 s[0:1], v[4:5]
	s_cbranch_execz .LBB0_78
; %bb.77:
	v_add_nc_u64_e32 v[8:9], v[0:1], v[6:7]
	global_load_b32 v10, v[8:9], off
	s_wait_xcnt 0x0
	v_add_nc_u64_e32 v[8:9], v[2:3], v[6:7]
	v_mov_b64_e32 v[6:7], v[4:5]
	s_wait_loadcnt 0x0
	global_store_b32 v[8:9], v10, off
.LBB0_78:
	s_wait_xcnt 0x0
	s_or_b32 exec_lo, exec_lo, s2
	v_cmp_gt_u64_e32 vcc_lo, s[0:1], v[6:7]
	s_and_b32 exec_lo, exec_lo, vcc_lo
	s_cbranch_execz .LBB0_80
; %bb.79:
	v_add_nc_u64_e32 v[0:1], v[0:1], v[6:7]
	global_load_u16 v4, v[0:1], off
	s_wait_xcnt 0x0
	v_add_nc_u64_e32 v[0:1], v[2:3], v[6:7]
	s_wait_loadcnt 0x0
	global_store_b16 v[0:1], v4, off
.LBB0_80:
	s_endpgm
	.section	.rodata,"a",@progbits
	.p2align	6, 0x0
	.amdhsa_kernel Cat8FwdPacked
		.amdhsa_group_segment_fixed_size 0
		.amdhsa_private_segment_fixed_size 0
		.amdhsa_kernarg_size 416
		.amdhsa_user_sgpr_count 2
		.amdhsa_user_sgpr_dispatch_ptr 0
		.amdhsa_user_sgpr_queue_ptr 0
		.amdhsa_user_sgpr_kernarg_segment_ptr 1
		.amdhsa_user_sgpr_dispatch_id 0
		.amdhsa_user_sgpr_kernarg_preload_length 0
		.amdhsa_user_sgpr_kernarg_preload_offset 0
		.amdhsa_user_sgpr_private_segment_size 0
		.amdhsa_wavefront_size32 1
		.amdhsa_uses_dynamic_stack 0
		.amdhsa_enable_private_segment 0
		.amdhsa_system_sgpr_workgroup_id_x 1
		.amdhsa_system_sgpr_workgroup_id_y 1
		.amdhsa_system_sgpr_workgroup_id_z 0
		.amdhsa_system_sgpr_workgroup_info 0
		.amdhsa_system_vgpr_workitem_id 1
		.amdhsa_next_free_vgpr 14
		.amdhsa_next_free_sgpr 40
		.amdhsa_named_barrier_count 0
		.amdhsa_reserve_vcc 1
		.amdhsa_float_round_mode_32 0
		.amdhsa_float_round_mode_16_64 0
		.amdhsa_float_denorm_mode_32 3
		.amdhsa_float_denorm_mode_16_64 3
		.amdhsa_fp16_overflow 0
		.amdhsa_memory_ordered 1
		.amdhsa_forward_progress 1
		.amdhsa_inst_pref_size 27
		.amdhsa_round_robin_scheduling 0
		.amdhsa_exception_fp_ieee_invalid_op 0
		.amdhsa_exception_fp_denorm_src 0
		.amdhsa_exception_fp_ieee_div_zero 0
		.amdhsa_exception_fp_ieee_overflow 0
		.amdhsa_exception_fp_ieee_underflow 0
		.amdhsa_exception_fp_ieee_inexact 0
		.amdhsa_exception_int_div_zero 0
	.end_amdhsa_kernel
	.text
.Lfunc_end0:
	.size	Cat8FwdPacked, .Lfunc_end0-Cat8FwdPacked
                                        ; -- End function
	.set Cat8FwdPacked.num_vgpr, 14
	.set Cat8FwdPacked.num_agpr, 0
	.set Cat8FwdPacked.numbered_sgpr, 40
	.set Cat8FwdPacked.num_named_barrier, 0
	.set Cat8FwdPacked.private_seg_size, 0
	.set Cat8FwdPacked.uses_vcc, 1
	.set Cat8FwdPacked.uses_flat_scratch, 0
	.set Cat8FwdPacked.has_dyn_sized_stack, 0
	.set Cat8FwdPacked.has_recursion, 0
	.set Cat8FwdPacked.has_indirect_call, 0
	.section	.AMDGPU.csdata,"",@progbits
; Kernel info:
; codeLenInByte = 3392
; TotalNumSgprs: 42
; NumVgprs: 14
; ScratchSize: 0
; MemoryBound: 0
; FloatMode: 240
; IeeeMode: 1
; LDSByteSize: 0 bytes/workgroup (compile time only)
; SGPRBlocks: 0
; VGPRBlocks: 0
; NumSGPRsForWavesPerEU: 42
; NumVGPRsForWavesPerEU: 14
; NamedBarCnt: 0
; Occupancy: 16
; WaveLimiterHint : 0
; COMPUTE_PGM_RSRC2:SCRATCH_EN: 0
; COMPUTE_PGM_RSRC2:USER_SGPR: 2
; COMPUTE_PGM_RSRC2:TRAP_HANDLER: 0
; COMPUTE_PGM_RSRC2:TGID_X_EN: 1
; COMPUTE_PGM_RSRC2:TGID_Y_EN: 1
; COMPUTE_PGM_RSRC2:TGID_Z_EN: 0
; COMPUTE_PGM_RSRC2:TIDIG_COMP_CNT: 1
	.text
	.protected	Cat4FwdPacked           ; -- Begin function Cat4FwdPacked
	.globl	Cat4FwdPacked
	.p2align	8
	.type	Cat4FwdPacked,@function
Cat4FwdPacked:                          ; @Cat4FwdPacked
; %bb.0:
	s_clause 0x1
	s_load_u16 s2, s[0:1], 0x6e
	s_load_b128 s[12:15], s[0:1], 0x48
	s_bfe_u32 s3, ttmp6, 0x40010
	s_bfe_u32 s4, ttmp6, 0x40004
	s_add_co_i32 s3, s3, 1
	s_getreg_b32 s20, hwreg(HW_REG_IB_STS2, 6, 4)
	s_mul_i32 s3, ttmp7, s3
	v_bfe_u32 v1, v0, 10, 10
	s_add_co_i32 s4, s4, s3
	s_cmp_eq_u32 s20, 0
	v_mov_b32_e32 v5, 0
	s_cselect_b32 s3, ttmp7, s4
	s_wait_kmcnt 0x0
	v_mad_u32 v4, s3, s2, v1
	s_mov_b32 s2, exec_lo
	s_delay_alu instid0(VALU_DEP_1)
	v_cmpx_gt_u64_e64 s[12:13], v[4:5]
	s_cbranch_execz .LBB1_40
; %bb.1:
	s_clause 0x2
	s_load_b64 s[2:3], s[0:1], 0x58
	s_load_b64 s[4:5], s[0:1], 0x20
	;; [unrolled: 1-line block ×3, first 2 shown]
	v_and_b32_e32 v5, 0x3ff, v0
	s_wait_kmcnt 0x0
	s_mul_u64 s[2:3], s[2:3], s[14:15]
	s_cmp_eq_u64 s[16:17], 0
	v_mad_nc_u64_u32 v[2:3], s2, v4, s[4:5]
	s_load_b256 s[4:11], s[0:1], 0x28
	s_delay_alu instid0(VALU_DEP_1)
	v_mad_u32 v3, s3, v4, v3
	s_add_nc_u64 s[2:3], s[0:1], 0x60
	s_cbranch_scc1 .LBB1_11
; %bb.2:
	s_load_b32 s18, s[2:3], 0x0
	s_bfe_u32 s12, ttmp6, 0x4000c
	s_and_b32 s13, ttmp6, 15
	s_add_co_i32 s12, s12, 1
	s_wait_kmcnt 0x0
	s_mul_u64 s[4:5], s[14:15], s[4:5]
	s_mul_i32 s12, ttmp9, s12
	v_mad_nc_u64_u32 v[0:1], s4, v4, s[16:17]
	s_add_co_i32 s13, s13, s12
	s_cmp_eq_u32 s20, 0
	v_mov_b32_e32 v7, 0
	s_cselect_b32 s19, ttmp9, s13
	s_mov_b32 s13, 0
	s_delay_alu instid0(VALU_DEP_2) | instskip(SKIP_2) | instid1(SALU_CYCLE_1)
	v_mad_u32 v1, s5, v4, v1
	s_cmp_lt_u32 s19, s18
	s_cselect_b32 s12, 12, 18
	s_add_nc_u64 s[22:23], s[2:3], s[12:13]
	s_load_u16 s12, s[22:23], 0x0
	s_wait_kmcnt 0x0
	v_mad_u32 v6, s19, s12, v5
	s_mov_b32 s19, exec_lo
	s_delay_alu instid0(VALU_DEP_1) | instskip(NEXT) | instid1(VALU_DEP_1)
	v_lshlrev_b64_e32 v[6:7], 3, v[6:7]
	v_add_nc_u64_e32 v[8:9], 8, v[6:7]
	s_delay_alu instid0(VALU_DEP_1)
	v_cmpx_ge_u64_e64 s[4:5], v[8:9]
	s_cbranch_execz .LBB1_6
; %bb.3:
	s_mul_i32 s12, s18, s12
	s_delay_alu instid0(SALU_CYCLE_1)
	s_lshl_b64 s[16:17], s[12:13], 3
.LBB1_4:                                ; =>This Inner Loop Header: Depth=1
	v_add_nc_u64_e32 v[8:9], v[0:1], v[6:7]
	v_add_nc_u64_e32 v[10:11], v[2:3], v[6:7]
	;; [unrolled: 1-line block ×3, first 2 shown]
	global_load_b64 v[8:9], v[8:9], off
	v_add_nc_u64_e32 v[12:13], 8, v[6:7]
	s_delay_alu instid0(VALU_DEP_1)
	v_cmp_lt_u64_e32 vcc_lo, s[4:5], v[12:13]
	s_or_b32 s13, vcc_lo, s13
	s_wait_loadcnt 0x0
	global_store_b64 v[10:11], v[8:9], off
	s_wait_xcnt 0x0
	s_and_not1_b32 exec_lo, exec_lo, s13
	s_cbranch_execnz .LBB1_4
; %bb.5:
	s_or_b32 exec_lo, exec_lo, s13
.LBB1_6:
	s_delay_alu instid0(SALU_CYCLE_1) | instskip(SKIP_2) | instid1(VALU_DEP_1)
	s_or_b32 exec_lo, exec_lo, s19
	v_dual_mov_b32 v9, v7 :: v_dual_bitop2_b32 v8, 4, v6 bitop3:0x54
	s_mov_b32 s12, exec_lo
	v_cmpx_ge_u64_e64 s[4:5], v[8:9]
	s_cbranch_execz .LBB1_8
; %bb.7:
	v_add_nc_u64_e32 v[10:11], v[0:1], v[6:7]
	global_load_b32 v12, v[10:11], off
	s_wait_xcnt 0x0
	v_add_nc_u64_e32 v[10:11], v[2:3], v[6:7]
	v_mov_b64_e32 v[6:7], v[8:9]
	s_wait_loadcnt 0x0
	global_store_b32 v[10:11], v12, off
.LBB1_8:
	s_wait_xcnt 0x0
	s_or_b32 exec_lo, exec_lo, s12
	s_delay_alu instid0(SALU_CYCLE_1)
	s_mov_b32 s12, exec_lo
	v_cmpx_gt_u64_e64 s[4:5], v[6:7]
	s_cbranch_execz .LBB1_10
; %bb.9:
	v_add_nc_u64_e32 v[0:1], v[0:1], v[6:7]
	global_load_u16 v8, v[0:1], off
	s_wait_xcnt 0x0
	v_add_nc_u64_e32 v[0:1], v[2:3], v[6:7]
	s_wait_loadcnt 0x0
	global_store_b16 v[0:1], v8, off
.LBB1_10:
	s_wait_xcnt 0x0
	s_or_b32 exec_lo, exec_lo, s12
	v_add_nc_u64_e32 v[2:3], s[4:5], v[2:3]
.LBB1_11:
	s_load_b128 s[16:19], s[0:1], 0x8
	s_wait_kmcnt 0x0
	s_load_b64 s[4:5], s[0:1], 0x18
	s_cmp_eq_u64 s[16:17], 0
	s_cbranch_scc1 .LBB1_21
; %bb.12:
	s_load_b32 s21, s[2:3], 0x0
	s_wait_xcnt 0x0
	s_bfe_u32 s0, ttmp6, 0x4000c
	s_and_b32 s1, ttmp6, 15
	s_add_co_i32 s0, s0, 1
	s_mov_b32 s13, 0
	s_mul_i32 s0, ttmp9, s0
	v_mov_b32_e32 v7, 0
	s_add_co_i32 s1, s1, s0
	s_cmp_eq_u32 s20, 0
	s_cselect_b32 s22, ttmp9, s1
	s_wait_kmcnt 0x0
	s_cmp_lt_u32 s22, s21
	s_cselect_b32 s12, 12, 18
	s_delay_alu instid0(SALU_CYCLE_1) | instskip(SKIP_3) | instid1(SALU_CYCLE_1)
	s_add_nc_u64 s[0:1], s[2:3], s[12:13]
	s_load_u16 s12, s[0:1], 0x0
	s_wait_xcnt 0x0
	s_mul_u64 s[0:1], s[14:15], s[6:7]
	v_mad_nc_u64_u32 v[0:1], s0, v4, s[16:17]
	s_mov_b32 s16, exec_lo
	s_delay_alu instid0(VALU_DEP_1) | instskip(SKIP_2) | instid1(VALU_DEP_1)
	v_mad_u32 v1, s1, v4, v1
	s_wait_kmcnt 0x0
	v_mad_u32 v6, s22, s12, v5
	v_lshlrev_b64_e32 v[6:7], 3, v[6:7]
	s_delay_alu instid0(VALU_DEP_1) | instskip(NEXT) | instid1(VALU_DEP_1)
	v_add_nc_u64_e32 v[8:9], 8, v[6:7]
	v_cmpx_ge_u64_e64 s[0:1], v[8:9]
	s_cbranch_execz .LBB1_16
; %bb.13:
	s_mul_i32 s12, s21, s12
	s_delay_alu instid0(SALU_CYCLE_1)
	s_lshl_b64 s[6:7], s[12:13], 3
.LBB1_14:                               ; =>This Inner Loop Header: Depth=1
	v_add_nc_u64_e32 v[8:9], v[0:1], v[6:7]
	v_add_nc_u64_e32 v[10:11], v[2:3], v[6:7]
	;; [unrolled: 1-line block ×3, first 2 shown]
	global_load_b64 v[8:9], v[8:9], off
	v_add_nc_u64_e32 v[12:13], 8, v[6:7]
	s_delay_alu instid0(VALU_DEP_1)
	v_cmp_lt_u64_e32 vcc_lo, s[0:1], v[12:13]
	s_or_b32 s13, vcc_lo, s13
	s_wait_loadcnt 0x0
	global_store_b64 v[10:11], v[8:9], off
	s_wait_xcnt 0x0
	s_and_not1_b32 exec_lo, exec_lo, s13
	s_cbranch_execnz .LBB1_14
; %bb.15:
	s_or_b32 exec_lo, exec_lo, s13
.LBB1_16:
	s_delay_alu instid0(SALU_CYCLE_1) | instskip(SKIP_2) | instid1(VALU_DEP_1)
	s_or_b32 exec_lo, exec_lo, s16
	v_dual_mov_b32 v9, v7 :: v_dual_bitop2_b32 v8, 4, v6 bitop3:0x54
	s_mov_b32 s6, exec_lo
	v_cmpx_ge_u64_e64 s[0:1], v[8:9]
	s_cbranch_execz .LBB1_18
; %bb.17:
	v_add_nc_u64_e32 v[10:11], v[0:1], v[6:7]
	global_load_b32 v12, v[10:11], off
	s_wait_xcnt 0x0
	v_add_nc_u64_e32 v[10:11], v[2:3], v[6:7]
	v_mov_b64_e32 v[6:7], v[8:9]
	s_wait_loadcnt 0x0
	global_store_b32 v[10:11], v12, off
.LBB1_18:
	s_wait_xcnt 0x0
	s_or_b32 exec_lo, exec_lo, s6
	s_delay_alu instid0(SALU_CYCLE_1)
	s_mov_b32 s6, exec_lo
	v_cmpx_gt_u64_e64 s[0:1], v[6:7]
	s_cbranch_execz .LBB1_20
; %bb.19:
	v_add_nc_u64_e32 v[0:1], v[0:1], v[6:7]
	global_load_u16 v8, v[0:1], off
	s_wait_xcnt 0x0
	v_add_nc_u64_e32 v[0:1], v[2:3], v[6:7]
	s_wait_loadcnt 0x0
	global_store_b16 v[0:1], v8, off
.LBB1_20:
	s_wait_xcnt 0x0
	s_or_b32 exec_lo, exec_lo, s6
	v_add_nc_u64_e32 v[2:3], s[0:1], v[2:3]
.LBB1_21:
	s_cmp_eq_u64 s[18:19], 0
	s_cbranch_scc1 .LBB1_31
; %bb.22:
	s_load_b32 s12, s[2:3], 0x0
	s_wait_xcnt 0x0
	s_bfe_u32 s0, ttmp6, 0x4000c
	s_and_b32 s1, ttmp6, 15
	s_add_co_i32 s0, s0, 1
	s_mov_b32 s7, 0
	s_mul_i32 s0, ttmp9, s0
	v_mov_b32_e32 v7, 0
	s_add_co_i32 s1, s1, s0
	s_cmp_eq_u32 s20, 0
	s_cselect_b32 s13, ttmp9, s1
	s_wait_kmcnt 0x0
	s_cmp_lt_u32 s13, s12
	s_cselect_b32 s6, 12, 18
	s_delay_alu instid0(SALU_CYCLE_1) | instskip(SKIP_3) | instid1(SALU_CYCLE_1)
	s_add_nc_u64 s[0:1], s[2:3], s[6:7]
	s_load_u16 s6, s[0:1], 0x0
	s_wait_xcnt 0x0
	s_mul_u64 s[0:1], s[14:15], s[8:9]
	v_mad_nc_u64_u32 v[0:1], s0, v4, s[18:19]
	s_delay_alu instid0(VALU_DEP_1) | instskip(SKIP_3) | instid1(VALU_DEP_1)
	v_mad_u32 v1, s1, v4, v1
	s_wait_kmcnt 0x0
	v_mad_u32 v6, s13, s6, v5
	s_mov_b32 s13, exec_lo
	v_lshlrev_b64_e32 v[6:7], 3, v[6:7]
	s_delay_alu instid0(VALU_DEP_1) | instskip(NEXT) | instid1(VALU_DEP_1)
	v_add_nc_u64_e32 v[8:9], 8, v[6:7]
	v_cmpx_ge_u64_e64 s[0:1], v[8:9]
	s_cbranch_execz .LBB1_26
; %bb.23:
	s_mul_i32 s6, s12, s6
	s_delay_alu instid0(SALU_CYCLE_1)
	s_lshl_b64 s[8:9], s[6:7], 3
.LBB1_24:                               ; =>This Inner Loop Header: Depth=1
	v_add_nc_u64_e32 v[8:9], v[0:1], v[6:7]
	v_add_nc_u64_e32 v[10:11], v[2:3], v[6:7]
	;; [unrolled: 1-line block ×3, first 2 shown]
	global_load_b64 v[8:9], v[8:9], off
	v_add_nc_u64_e32 v[12:13], 8, v[6:7]
	s_delay_alu instid0(VALU_DEP_1)
	v_cmp_lt_u64_e32 vcc_lo, s[0:1], v[12:13]
	s_or_b32 s7, vcc_lo, s7
	s_wait_loadcnt 0x0
	global_store_b64 v[10:11], v[8:9], off
	s_wait_xcnt 0x0
	s_and_not1_b32 exec_lo, exec_lo, s7
	s_cbranch_execnz .LBB1_24
; %bb.25:
	s_or_b32 exec_lo, exec_lo, s7
.LBB1_26:
	s_delay_alu instid0(SALU_CYCLE_1) | instskip(SKIP_2) | instid1(VALU_DEP_1)
	s_or_b32 exec_lo, exec_lo, s13
	v_dual_mov_b32 v9, v7 :: v_dual_bitop2_b32 v8, 4, v6 bitop3:0x54
	s_mov_b32 s6, exec_lo
	v_cmpx_ge_u64_e64 s[0:1], v[8:9]
	s_cbranch_execz .LBB1_28
; %bb.27:
	v_add_nc_u64_e32 v[10:11], v[0:1], v[6:7]
	global_load_b32 v12, v[10:11], off
	s_wait_xcnt 0x0
	v_add_nc_u64_e32 v[10:11], v[2:3], v[6:7]
	v_mov_b64_e32 v[6:7], v[8:9]
	s_wait_loadcnt 0x0
	global_store_b32 v[10:11], v12, off
.LBB1_28:
	s_wait_xcnt 0x0
	s_or_b32 exec_lo, exec_lo, s6
	s_delay_alu instid0(SALU_CYCLE_1)
	s_mov_b32 s6, exec_lo
	v_cmpx_gt_u64_e64 s[0:1], v[6:7]
	s_cbranch_execz .LBB1_30
; %bb.29:
	v_add_nc_u64_e32 v[0:1], v[0:1], v[6:7]
	global_load_u16 v8, v[0:1], off
	s_wait_xcnt 0x0
	v_add_nc_u64_e32 v[0:1], v[2:3], v[6:7]
	s_wait_loadcnt 0x0
	global_store_b16 v[0:1], v8, off
.LBB1_30:
	s_wait_xcnt 0x0
	s_or_b32 exec_lo, exec_lo, s6
	v_add_nc_u64_e32 v[2:3], s[0:1], v[2:3]
.LBB1_31:
	s_wait_kmcnt 0x0
	s_cmp_eq_u64 s[4:5], 0
	s_cbranch_scc1 .LBB1_40
; %bb.32:
	s_load_b32 s8, s[2:3], 0x0
	s_bfe_u32 s0, ttmp6, 0x4000c
	s_and_b32 s1, ttmp6, 15
	s_add_co_i32 s0, s0, 1
	s_mov_b32 s7, 0
	s_mul_i32 s0, ttmp9, s0
	v_mov_b32_e32 v7, 0
	s_add_co_i32 s1, s1, s0
	s_cmp_eq_u32 s20, 0
	s_cselect_b32 s9, ttmp9, s1
	s_wait_kmcnt 0x0
	s_cmp_lt_u32 s9, s8
	s_cselect_b32 s6, 12, 18
	s_delay_alu instid0(SALU_CYCLE_1) | instskip(SKIP_3) | instid1(SALU_CYCLE_1)
	s_add_nc_u64 s[0:1], s[2:3], s[6:7]
	s_load_u16 s2, s[0:1], 0x0
	s_wait_xcnt 0x0
	s_mul_u64 s[0:1], s[14:15], s[10:11]
	v_mad_nc_u64_u32 v[0:1], s0, v4, s[4:5]
	s_mov_b32 s4, exec_lo
	s_delay_alu instid0(VALU_DEP_1) | instskip(SKIP_2) | instid1(VALU_DEP_1)
	v_mad_u32 v1, s1, v4, v1
	s_wait_kmcnt 0x0
	v_mad_u32 v6, s9, s2, v5
	v_lshlrev_b64_e32 v[6:7], 3, v[6:7]
	s_delay_alu instid0(VALU_DEP_1) | instskip(NEXT) | instid1(VALU_DEP_1)
	v_add_nc_u64_e32 v[8:9], 8, v[6:7]
	v_cmpx_ge_u64_e64 s[0:1], v[8:9]
	s_cbranch_execz .LBB1_36
; %bb.33:
	s_mul_i32 s6, s8, s2
	s_delay_alu instid0(SALU_CYCLE_1)
	s_lshl_b64 s[2:3], s[6:7], 3
.LBB1_34:                               ; =>This Inner Loop Header: Depth=1
	v_add_nc_u64_e32 v[4:5], v[0:1], v[6:7]
	v_add_nc_u64_e32 v[8:9], v[2:3], v[6:7]
	;; [unrolled: 1-line block ×3, first 2 shown]
	global_load_b64 v[4:5], v[4:5], off
	v_add_nc_u64_e32 v[10:11], 8, v[6:7]
	s_delay_alu instid0(VALU_DEP_1)
	v_cmp_lt_u64_e32 vcc_lo, s[0:1], v[10:11]
	s_or_b32 s7, vcc_lo, s7
	s_wait_loadcnt 0x0
	global_store_b64 v[8:9], v[4:5], off
	s_wait_xcnt 0x0
	s_and_not1_b32 exec_lo, exec_lo, s7
	s_cbranch_execnz .LBB1_34
; %bb.35:
	s_or_b32 exec_lo, exec_lo, s7
.LBB1_36:
	s_delay_alu instid0(SALU_CYCLE_1) | instskip(SKIP_2) | instid1(VALU_DEP_1)
	s_or_b32 exec_lo, exec_lo, s4
	v_dual_mov_b32 v5, v7 :: v_dual_bitop2_b32 v4, 4, v6 bitop3:0x54
	s_mov_b32 s2, exec_lo
	v_cmpx_ge_u64_e64 s[0:1], v[4:5]
	s_cbranch_execz .LBB1_38
; %bb.37:
	v_add_nc_u64_e32 v[8:9], v[0:1], v[6:7]
	global_load_b32 v10, v[8:9], off
	s_wait_xcnt 0x0
	v_add_nc_u64_e32 v[8:9], v[2:3], v[6:7]
	v_mov_b64_e32 v[6:7], v[4:5]
	s_wait_loadcnt 0x0
	global_store_b32 v[8:9], v10, off
.LBB1_38:
	s_wait_xcnt 0x0
	s_or_b32 exec_lo, exec_lo, s2
	v_cmp_gt_u64_e32 vcc_lo, s[0:1], v[6:7]
	s_and_b32 exec_lo, exec_lo, vcc_lo
	s_cbranch_execz .LBB1_40
; %bb.39:
	v_add_nc_u64_e32 v[0:1], v[0:1], v[6:7]
	global_load_u16 v4, v[0:1], off
	s_wait_xcnt 0x0
	v_add_nc_u64_e32 v[0:1], v[2:3], v[6:7]
	s_wait_loadcnt 0x0
	global_store_b16 v[0:1], v4, off
.LBB1_40:
	s_endpgm
	.section	.rodata,"a",@progbits
	.p2align	6, 0x0
	.amdhsa_kernel Cat4FwdPacked
		.amdhsa_group_segment_fixed_size 0
		.amdhsa_private_segment_fixed_size 0
		.amdhsa_kernarg_size 352
		.amdhsa_user_sgpr_count 2
		.amdhsa_user_sgpr_dispatch_ptr 0
		.amdhsa_user_sgpr_queue_ptr 0
		.amdhsa_user_sgpr_kernarg_segment_ptr 1
		.amdhsa_user_sgpr_dispatch_id 0
		.amdhsa_user_sgpr_kernarg_preload_length 0
		.amdhsa_user_sgpr_kernarg_preload_offset 0
		.amdhsa_user_sgpr_private_segment_size 0
		.amdhsa_wavefront_size32 1
		.amdhsa_uses_dynamic_stack 0
		.amdhsa_enable_private_segment 0
		.amdhsa_system_sgpr_workgroup_id_x 1
		.amdhsa_system_sgpr_workgroup_id_y 1
		.amdhsa_system_sgpr_workgroup_id_z 0
		.amdhsa_system_sgpr_workgroup_info 0
		.amdhsa_system_vgpr_workitem_id 1
		.amdhsa_next_free_vgpr 14
		.amdhsa_next_free_sgpr 24
		.amdhsa_named_barrier_count 0
		.amdhsa_reserve_vcc 1
		.amdhsa_float_round_mode_32 0
		.amdhsa_float_round_mode_16_64 0
		.amdhsa_float_denorm_mode_32 3
		.amdhsa_float_denorm_mode_16_64 3
		.amdhsa_fp16_overflow 0
		.amdhsa_memory_ordered 1
		.amdhsa_forward_progress 1
		.amdhsa_inst_pref_size 14
		.amdhsa_round_robin_scheduling 0
		.amdhsa_exception_fp_ieee_invalid_op 0
		.amdhsa_exception_fp_denorm_src 0
		.amdhsa_exception_fp_ieee_div_zero 0
		.amdhsa_exception_fp_ieee_overflow 0
		.amdhsa_exception_fp_ieee_underflow 0
		.amdhsa_exception_fp_ieee_inexact 0
		.amdhsa_exception_int_div_zero 0
	.end_amdhsa_kernel
	.text
.Lfunc_end1:
	.size	Cat4FwdPacked, .Lfunc_end1-Cat4FwdPacked
                                        ; -- End function
	.set Cat4FwdPacked.num_vgpr, 14
	.set Cat4FwdPacked.num_agpr, 0
	.set Cat4FwdPacked.numbered_sgpr, 24
	.set Cat4FwdPacked.num_named_barrier, 0
	.set Cat4FwdPacked.private_seg_size, 0
	.set Cat4FwdPacked.uses_vcc, 1
	.set Cat4FwdPacked.uses_flat_scratch, 0
	.set Cat4FwdPacked.has_dyn_sized_stack, 0
	.set Cat4FwdPacked.has_recursion, 0
	.set Cat4FwdPacked.has_indirect_call, 0
	.section	.AMDGPU.csdata,"",@progbits
; Kernel info:
; codeLenInByte = 1780
; TotalNumSgprs: 26
; NumVgprs: 14
; ScratchSize: 0
; MemoryBound: 0
; FloatMode: 240
; IeeeMode: 1
; LDSByteSize: 0 bytes/workgroup (compile time only)
; SGPRBlocks: 0
; VGPRBlocks: 0
; NumSGPRsForWavesPerEU: 26
; NumVGPRsForWavesPerEU: 14
; NamedBarCnt: 0
; Occupancy: 16
; WaveLimiterHint : 0
; COMPUTE_PGM_RSRC2:SCRATCH_EN: 0
; COMPUTE_PGM_RSRC2:USER_SGPR: 2
; COMPUTE_PGM_RSRC2:TRAP_HANDLER: 0
; COMPUTE_PGM_RSRC2:TGID_X_EN: 1
; COMPUTE_PGM_RSRC2:TGID_Y_EN: 1
; COMPUTE_PGM_RSRC2:TGID_Z_EN: 0
; COMPUTE_PGM_RSRC2:TIDIG_COMP_CNT: 1
	.text
	.protected	Cat2FwdPacked           ; -- Begin function Cat2FwdPacked
	.globl	Cat2FwdPacked
	.p2align	8
	.type	Cat2FwdPacked,@function
Cat2FwdPacked:                          ; @Cat2FwdPacked
; %bb.0:
	s_load_u16 s2, s[0:1], 0x4e
	s_bfe_u32 s3, ttmp6, 0x40010
	s_load_b256 s[4:11], s[0:1], 0x18
	s_add_co_i32 s3, s3, 1
	s_bfe_u32 s12, ttmp6, 0x40004
	s_mul_i32 s3, ttmp7, s3
	s_getreg_b32 s14, hwreg(HW_REG_IB_STS2, 6, 4)
	s_add_co_i32 s12, s12, s3
	v_bfe_u32 v1, v0, 10, 10
	s_cmp_eq_u32 s14, 0
	v_mov_b32_e32 v5, 0
	s_cselect_b32 s3, ttmp7, s12
	s_wait_kmcnt 0x0
	v_mad_u32 v4, s3, s2, v1
	s_mov_b32 s2, exec_lo
	s_delay_alu instid0(VALU_DEP_1)
	v_cmpx_gt_u64_e64 s[8:9], v[4:5]
	s_cbranch_execz .LBB2_20
; %bb.1:
	s_clause 0x2
	s_load_b64 s[2:3], s[0:1], 0x38
	s_load_b64 s[8:9], s[0:1], 0x10
	;; [unrolled: 1-line block ×3, first 2 shown]
	v_and_b32_e32 v5, 0x3ff, v0
	s_wait_kmcnt 0x0
	s_mul_u64 s[2:3], s[2:3], s[10:11]
	s_cmp_eq_u64 s[12:13], 0
	v_mad_nc_u64_u32 v[2:3], s2, v4, s[8:9]
	s_delay_alu instid0(VALU_DEP_1)
	v_mad_u32 v3, s3, v4, v3
	s_add_nc_u64 s[2:3], s[0:1], 64
	s_cbranch_scc1 .LBB2_11
; %bb.2:
	s_load_b32 s15, s[2:3], 0x0
	s_bfe_u32 s8, ttmp6, 0x4000c
	s_and_b32 s9, ttmp6, 15
	s_add_co_i32 s8, s8, 1
	s_mul_u64 s[4:5], s[10:11], s[4:5]
	s_mul_i32 s8, ttmp9, s8
	v_mad_nc_u64_u32 v[0:1], s4, v4, s[12:13]
	s_add_co_i32 s9, s9, s8
	s_cmp_eq_u32 s14, 0
	v_mov_b32_e32 v7, 0
	s_cselect_b32 s18, ttmp9, s9
	s_mov_b32 s9, 0
	s_delay_alu instid0(VALU_DEP_2) | instskip(SKIP_3) | instid1(SALU_CYCLE_1)
	v_mad_u32 v1, s5, v4, v1
	s_wait_kmcnt 0x0
	s_cmp_lt_u32 s18, s15
	s_cselect_b32 s8, 12, 18
	s_add_nc_u64 s[16:17], s[2:3], s[8:9]
	s_load_u16 s8, s[16:17], 0x0
	s_wait_xcnt 0x0
	s_mov_b32 s16, exec_lo
	s_wait_kmcnt 0x0
	v_mad_u32 v6, s18, s8, v5
	s_delay_alu instid0(VALU_DEP_1) | instskip(NEXT) | instid1(VALU_DEP_1)
	v_lshlrev_b64_e32 v[6:7], 3, v[6:7]
	v_add_nc_u64_e32 v[8:9], 8, v[6:7]
	s_delay_alu instid0(VALU_DEP_1)
	v_cmpx_ge_u64_e64 s[4:5], v[8:9]
	s_cbranch_execz .LBB2_6
; %bb.3:
	s_mul_i32 s8, s15, s8
	s_delay_alu instid0(SALU_CYCLE_1)
	s_lshl_b64 s[12:13], s[8:9], 3
.LBB2_4:                                ; =>This Inner Loop Header: Depth=1
	v_add_nc_u64_e32 v[8:9], v[0:1], v[6:7]
	v_add_nc_u64_e32 v[10:11], v[2:3], v[6:7]
	v_add_nc_u64_e32 v[6:7], s[12:13], v[6:7]
	global_load_b64 v[8:9], v[8:9], off
	v_add_nc_u64_e32 v[12:13], 8, v[6:7]
	s_delay_alu instid0(VALU_DEP_1)
	v_cmp_lt_u64_e32 vcc_lo, s[4:5], v[12:13]
	s_or_b32 s9, vcc_lo, s9
	s_wait_loadcnt 0x0
	global_store_b64 v[10:11], v[8:9], off
	s_wait_xcnt 0x0
	s_and_not1_b32 exec_lo, exec_lo, s9
	s_cbranch_execnz .LBB2_4
; %bb.5:
	s_or_b32 exec_lo, exec_lo, s9
.LBB2_6:
	s_delay_alu instid0(SALU_CYCLE_1) | instskip(SKIP_2) | instid1(VALU_DEP_1)
	s_or_b32 exec_lo, exec_lo, s16
	v_dual_mov_b32 v9, v7 :: v_dual_bitop2_b32 v8, 4, v6 bitop3:0x54
	s_mov_b32 s8, exec_lo
	v_cmpx_ge_u64_e64 s[4:5], v[8:9]
	s_cbranch_execz .LBB2_8
; %bb.7:
	v_add_nc_u64_e32 v[10:11], v[0:1], v[6:7]
	global_load_b32 v12, v[10:11], off
	s_wait_xcnt 0x0
	v_add_nc_u64_e32 v[10:11], v[2:3], v[6:7]
	v_mov_b64_e32 v[6:7], v[8:9]
	s_wait_loadcnt 0x0
	global_store_b32 v[10:11], v12, off
.LBB2_8:
	s_wait_xcnt 0x0
	s_or_b32 exec_lo, exec_lo, s8
	s_delay_alu instid0(SALU_CYCLE_1)
	s_mov_b32 s8, exec_lo
	v_cmpx_gt_u64_e64 s[4:5], v[6:7]
	s_cbranch_execz .LBB2_10
; %bb.9:
	v_add_nc_u64_e32 v[0:1], v[0:1], v[6:7]
	global_load_u16 v8, v[0:1], off
	s_wait_xcnt 0x0
	v_add_nc_u64_e32 v[0:1], v[2:3], v[6:7]
	s_wait_loadcnt 0x0
	global_store_b16 v[0:1], v8, off
.LBB2_10:
	s_wait_xcnt 0x0
	s_or_b32 exec_lo, exec_lo, s8
	v_add_nc_u64_e32 v[2:3], s[4:5], v[2:3]
.LBB2_11:
	s_load_b64 s[8:9], s[0:1], 0x8
	s_wait_kmcnt 0x0
	s_cmp_eq_u64 s[8:9], 0
	s_cbranch_scc1 .LBB2_20
; %bb.12:
	s_load_b32 s12, s[2:3], 0x0
	s_bfe_u32 s0, ttmp6, 0x4000c
	s_and_b32 s1, ttmp6, 15
	s_add_co_i32 s0, s0, 1
	s_mov_b32 s5, 0
	s_mul_i32 s0, ttmp9, s0
	v_mov_b32_e32 v7, 0
	s_add_co_i32 s1, s1, s0
	s_cmp_eq_u32 s14, 0
	s_cselect_b32 s13, ttmp9, s1
	s_wait_kmcnt 0x0
	s_cmp_lt_u32 s13, s12
	s_cselect_b32 s4, 12, 18
	s_delay_alu instid0(SALU_CYCLE_1)
	s_add_nc_u64 s[0:1], s[2:3], s[4:5]
	s_load_u16 s2, s[0:1], 0x0
	s_wait_xcnt 0x0
	s_mul_u64 s[0:1], s[10:11], s[6:7]
	s_mov_b32 s6, exec_lo
	v_mad_nc_u64_u32 v[0:1], s0, v4, s[8:9]
	s_delay_alu instid0(VALU_DEP_1) | instskip(SKIP_2) | instid1(VALU_DEP_1)
	v_mad_u32 v1, s1, v4, v1
	s_wait_kmcnt 0x0
	v_mad_u32 v6, s13, s2, v5
	v_lshlrev_b64_e32 v[6:7], 3, v[6:7]
	s_delay_alu instid0(VALU_DEP_1) | instskip(NEXT) | instid1(VALU_DEP_1)
	v_add_nc_u64_e32 v[8:9], 8, v[6:7]
	v_cmpx_ge_u64_e64 s[0:1], v[8:9]
	s_cbranch_execz .LBB2_16
; %bb.13:
	s_mul_i32 s4, s12, s2
	s_delay_alu instid0(SALU_CYCLE_1)
	s_lshl_b64 s[2:3], s[4:5], 3
.LBB2_14:                               ; =>This Inner Loop Header: Depth=1
	v_add_nc_u64_e32 v[4:5], v[0:1], v[6:7]
	v_add_nc_u64_e32 v[8:9], v[2:3], v[6:7]
	;; [unrolled: 1-line block ×3, first 2 shown]
	global_load_b64 v[4:5], v[4:5], off
	v_add_nc_u64_e32 v[10:11], 8, v[6:7]
	s_delay_alu instid0(VALU_DEP_1)
	v_cmp_lt_u64_e32 vcc_lo, s[0:1], v[10:11]
	s_or_b32 s5, vcc_lo, s5
	s_wait_loadcnt 0x0
	global_store_b64 v[8:9], v[4:5], off
	s_wait_xcnt 0x0
	s_and_not1_b32 exec_lo, exec_lo, s5
	s_cbranch_execnz .LBB2_14
; %bb.15:
	s_or_b32 exec_lo, exec_lo, s5
.LBB2_16:
	s_delay_alu instid0(SALU_CYCLE_1) | instskip(SKIP_2) | instid1(VALU_DEP_1)
	s_or_b32 exec_lo, exec_lo, s6
	v_dual_mov_b32 v5, v7 :: v_dual_bitop2_b32 v4, 4, v6 bitop3:0x54
	s_mov_b32 s2, exec_lo
	v_cmpx_ge_u64_e64 s[0:1], v[4:5]
	s_cbranch_execz .LBB2_18
; %bb.17:
	v_add_nc_u64_e32 v[8:9], v[0:1], v[6:7]
	global_load_b32 v10, v[8:9], off
	s_wait_xcnt 0x0
	v_add_nc_u64_e32 v[8:9], v[2:3], v[6:7]
	v_mov_b64_e32 v[6:7], v[4:5]
	s_wait_loadcnt 0x0
	global_store_b32 v[8:9], v10, off
.LBB2_18:
	s_wait_xcnt 0x0
	s_or_b32 exec_lo, exec_lo, s2
	v_cmp_gt_u64_e32 vcc_lo, s[0:1], v[6:7]
	s_and_b32 exec_lo, exec_lo, vcc_lo
	s_cbranch_execz .LBB2_20
; %bb.19:
	v_add_nc_u64_e32 v[0:1], v[0:1], v[6:7]
	global_load_u16 v4, v[0:1], off
	s_wait_xcnt 0x0
	v_add_nc_u64_e32 v[0:1], v[2:3], v[6:7]
	s_wait_loadcnt 0x0
	global_store_b16 v[0:1], v4, off
.LBB2_20:
	s_endpgm
	.section	.rodata,"a",@progbits
	.p2align	6, 0x0
	.amdhsa_kernel Cat2FwdPacked
		.amdhsa_group_segment_fixed_size 0
		.amdhsa_private_segment_fixed_size 0
		.amdhsa_kernarg_size 320
		.amdhsa_user_sgpr_count 2
		.amdhsa_user_sgpr_dispatch_ptr 0
		.amdhsa_user_sgpr_queue_ptr 0
		.amdhsa_user_sgpr_kernarg_segment_ptr 1
		.amdhsa_user_sgpr_dispatch_id 0
		.amdhsa_user_sgpr_kernarg_preload_length 0
		.amdhsa_user_sgpr_kernarg_preload_offset 0
		.amdhsa_user_sgpr_private_segment_size 0
		.amdhsa_wavefront_size32 1
		.amdhsa_uses_dynamic_stack 0
		.amdhsa_enable_private_segment 0
		.amdhsa_system_sgpr_workgroup_id_x 1
		.amdhsa_system_sgpr_workgroup_id_y 1
		.amdhsa_system_sgpr_workgroup_id_z 0
		.amdhsa_system_sgpr_workgroup_info 0
		.amdhsa_system_vgpr_workitem_id 1
		.amdhsa_next_free_vgpr 14
		.amdhsa_next_free_sgpr 19
		.amdhsa_named_barrier_count 0
		.amdhsa_reserve_vcc 1
		.amdhsa_float_round_mode_32 0
		.amdhsa_float_round_mode_16_64 0
		.amdhsa_float_denorm_mode_32 3
		.amdhsa_float_denorm_mode_16_64 3
		.amdhsa_fp16_overflow 0
		.amdhsa_memory_ordered 1
		.amdhsa_forward_progress 1
		.amdhsa_inst_pref_size 8
		.amdhsa_round_robin_scheduling 0
		.amdhsa_exception_fp_ieee_invalid_op 0
		.amdhsa_exception_fp_denorm_src 0
		.amdhsa_exception_fp_ieee_div_zero 0
		.amdhsa_exception_fp_ieee_overflow 0
		.amdhsa_exception_fp_ieee_underflow 0
		.amdhsa_exception_fp_ieee_inexact 0
		.amdhsa_exception_int_div_zero 0
	.end_amdhsa_kernel
	.text
.Lfunc_end2:
	.size	Cat2FwdPacked, .Lfunc_end2-Cat2FwdPacked
                                        ; -- End function
	.set Cat2FwdPacked.num_vgpr, 14
	.set Cat2FwdPacked.num_agpr, 0
	.set Cat2FwdPacked.numbered_sgpr, 19
	.set Cat2FwdPacked.num_named_barrier, 0
	.set Cat2FwdPacked.private_seg_size, 0
	.set Cat2FwdPacked.uses_vcc, 1
	.set Cat2FwdPacked.uses_flat_scratch, 0
	.set Cat2FwdPacked.has_dyn_sized_stack, 0
	.set Cat2FwdPacked.has_recursion, 0
	.set Cat2FwdPacked.has_indirect_call, 0
	.section	.AMDGPU.csdata,"",@progbits
; Kernel info:
; codeLenInByte = 956
; TotalNumSgprs: 21
; NumVgprs: 14
; ScratchSize: 0
; MemoryBound: 0
; FloatMode: 240
; IeeeMode: 1
; LDSByteSize: 0 bytes/workgroup (compile time only)
; SGPRBlocks: 0
; VGPRBlocks: 0
; NumSGPRsForWavesPerEU: 21
; NumVGPRsForWavesPerEU: 14
; NamedBarCnt: 0
; Occupancy: 16
; WaveLimiterHint : 0
; COMPUTE_PGM_RSRC2:SCRATCH_EN: 0
; COMPUTE_PGM_RSRC2:USER_SGPR: 2
; COMPUTE_PGM_RSRC2:TRAP_HANDLER: 0
; COMPUTE_PGM_RSRC2:TGID_X_EN: 1
; COMPUTE_PGM_RSRC2:TGID_Y_EN: 1
; COMPUTE_PGM_RSRC2:TGID_Z_EN: 0
; COMPUTE_PGM_RSRC2:TIDIG_COMP_CNT: 1
	.text
	.p2alignl 7, 3214868480
	.fill 96, 4, 3214868480
	.section	.AMDGPU.gpr_maximums,"",@progbits
	.set amdgpu.max_num_vgpr, 0
	.set amdgpu.max_num_agpr, 0
	.set amdgpu.max_num_sgpr, 0
	.text
	.type	__hip_cuid_c74f1fb253b17090,@object ; @__hip_cuid_c74f1fb253b17090
	.section	.bss,"aw",@nobits
	.globl	__hip_cuid_c74f1fb253b17090
__hip_cuid_c74f1fb253b17090:
	.byte	0                               ; 0x0
	.size	__hip_cuid_c74f1fb253b17090, 1

	.ident	"AMD clang version 22.0.0git (https://github.com/RadeonOpenCompute/llvm-project roc-7.2.4 26084 f58b06dce1f9c15707c5f808fd002e18c2accf7e)"
	.section	".note.GNU-stack","",@progbits
	.addrsig
	.addrsig_sym __hip_cuid_c74f1fb253b17090
	.amdgpu_metadata
---
amdhsa.kernels:
  - .args:
      - .actual_access:  read_only
        .address_space:  global
        .offset:         0
        .size:           8
        .value_kind:     global_buffer
      - .actual_access:  read_only
        .address_space:  global
        .offset:         8
        .size:           8
        .value_kind:     global_buffer
      - .actual_access:  read_only
        .address_space:  global
        .offset:         16
        .size:           8
        .value_kind:     global_buffer
      - .actual_access:  read_only
        .address_space:  global
        .offset:         24
        .size:           8
        .value_kind:     global_buffer
      - .actual_access:  read_only
        .address_space:  global
        .offset:         32
        .size:           8
        .value_kind:     global_buffer
      - .actual_access:  read_only
        .address_space:  global
        .offset:         40
        .size:           8
        .value_kind:     global_buffer
      - .actual_access:  read_only
        .address_space:  global
        .offset:         48
        .size:           8
        .value_kind:     global_buffer
      - .actual_access:  read_only
        .address_space:  global
        .offset:         56
        .size:           8
        .value_kind:     global_buffer
      - .actual_access:  write_only
        .address_space:  global
        .offset:         64
        .size:           8
        .value_kind:     global_buffer
      - .offset:         72
        .size:           8
        .value_kind:     by_value
      - .offset:         80
        .size:           8
        .value_kind:     by_value
      - .offset:         88
        .size:           8
        .value_kind:     by_value
      - .offset:         96
        .size:           8
        .value_kind:     by_value
      - .offset:         104
        .size:           8
        .value_kind:     by_value
      - .offset:         112
        .size:           8
        .value_kind:     by_value
      - .offset:         120
        .size:           8
        .value_kind:     by_value
      - .offset:         128
        .size:           8
        .value_kind:     by_value
      - .offset:         136
        .size:           8
        .value_kind:     by_value
      - .offset:         144
        .size:           8
        .value_kind:     by_value
      - .offset:         152
        .size:           8
        .value_kind:     by_value
      - .offset:         160
        .size:           4
        .value_kind:     hidden_block_count_x
      - .offset:         164
        .size:           4
        .value_kind:     hidden_block_count_y
      - .offset:         168
        .size:           4
        .value_kind:     hidden_block_count_z
      - .offset:         172
        .size:           2
        .value_kind:     hidden_group_size_x
      - .offset:         174
        .size:           2
        .value_kind:     hidden_group_size_y
      - .offset:         176
        .size:           2
        .value_kind:     hidden_group_size_z
      - .offset:         178
        .size:           2
        .value_kind:     hidden_remainder_x
      - .offset:         180
        .size:           2
        .value_kind:     hidden_remainder_y
      - .offset:         182
        .size:           2
        .value_kind:     hidden_remainder_z
      - .offset:         200
        .size:           8
        .value_kind:     hidden_global_offset_x
      - .offset:         208
        .size:           8
        .value_kind:     hidden_global_offset_y
      - .offset:         216
        .size:           8
        .value_kind:     hidden_global_offset_z
      - .offset:         224
        .size:           2
        .value_kind:     hidden_grid_dims
    .group_segment_fixed_size: 0
    .kernarg_segment_align: 8
    .kernarg_segment_size: 416
    .language:       OpenCL C
    .language_version:
      - 2
      - 0
    .max_flat_workgroup_size: 1024
    .name:           Cat8FwdPacked
    .private_segment_fixed_size: 0
    .sgpr_count:     42
    .sgpr_spill_count: 0
    .symbol:         Cat8FwdPacked.kd
    .uniform_work_group_size: 1
    .uses_dynamic_stack: false
    .vgpr_count:     14
    .vgpr_spill_count: 0
    .wavefront_size: 32
  - .args:
      - .actual_access:  read_only
        .address_space:  global
        .offset:         0
        .size:           8
        .value_kind:     global_buffer
      - .actual_access:  read_only
        .address_space:  global
        .offset:         8
        .size:           8
        .value_kind:     global_buffer
      - .actual_access:  read_only
        .address_space:  global
        .offset:         16
        .size:           8
        .value_kind:     global_buffer
      - .actual_access:  read_only
        .address_space:  global
        .offset:         24
        .size:           8
        .value_kind:     global_buffer
      - .actual_access:  write_only
        .address_space:  global
        .offset:         32
        .size:           8
        .value_kind:     global_buffer
      - .offset:         40
        .size:           8
        .value_kind:     by_value
      - .offset:         48
        .size:           8
        .value_kind:     by_value
      - .offset:         56
        .size:           8
        .value_kind:     by_value
      - .offset:         64
        .size:           8
        .value_kind:     by_value
      - .offset:         72
        .size:           8
        .value_kind:     by_value
      - .offset:         80
        .size:           8
        .value_kind:     by_value
      - .offset:         88
        .size:           8
        .value_kind:     by_value
      - .offset:         96
        .size:           4
        .value_kind:     hidden_block_count_x
      - .offset:         100
        .size:           4
        .value_kind:     hidden_block_count_y
      - .offset:         104
        .size:           4
        .value_kind:     hidden_block_count_z
      - .offset:         108
        .size:           2
        .value_kind:     hidden_group_size_x
      - .offset:         110
        .size:           2
        .value_kind:     hidden_group_size_y
      - .offset:         112
        .size:           2
        .value_kind:     hidden_group_size_z
      - .offset:         114
        .size:           2
        .value_kind:     hidden_remainder_x
      - .offset:         116
        .size:           2
        .value_kind:     hidden_remainder_y
      - .offset:         118
        .size:           2
        .value_kind:     hidden_remainder_z
      - .offset:         136
        .size:           8
        .value_kind:     hidden_global_offset_x
      - .offset:         144
        .size:           8
        .value_kind:     hidden_global_offset_y
      - .offset:         152
        .size:           8
        .value_kind:     hidden_global_offset_z
      - .offset:         160
        .size:           2
        .value_kind:     hidden_grid_dims
    .group_segment_fixed_size: 0
    .kernarg_segment_align: 8
    .kernarg_segment_size: 352
    .language:       OpenCL C
    .language_version:
      - 2
      - 0
    .max_flat_workgroup_size: 1024
    .name:           Cat4FwdPacked
    .private_segment_fixed_size: 0
    .sgpr_count:     26
    .sgpr_spill_count: 0
    .symbol:         Cat4FwdPacked.kd
    .uniform_work_group_size: 1
    .uses_dynamic_stack: false
    .vgpr_count:     14
    .vgpr_spill_count: 0
    .wavefront_size: 32
  - .args:
      - .actual_access:  read_only
        .address_space:  global
        .offset:         0
        .size:           8
        .value_kind:     global_buffer
      - .actual_access:  read_only
        .address_space:  global
        .offset:         8
        .size:           8
        .value_kind:     global_buffer
      - .actual_access:  write_only
        .address_space:  global
        .offset:         16
        .size:           8
        .value_kind:     global_buffer
      - .offset:         24
        .size:           8
        .value_kind:     by_value
      - .offset:         32
        .size:           8
        .value_kind:     by_value
      - .offset:         40
        .size:           8
        .value_kind:     by_value
      - .offset:         48
        .size:           8
        .value_kind:     by_value
      - .offset:         56
        .size:           8
        .value_kind:     by_value
      - .offset:         64
        .size:           4
        .value_kind:     hidden_block_count_x
      - .offset:         68
        .size:           4
        .value_kind:     hidden_block_count_y
      - .offset:         72
        .size:           4
        .value_kind:     hidden_block_count_z
      - .offset:         76
        .size:           2
        .value_kind:     hidden_group_size_x
      - .offset:         78
        .size:           2
        .value_kind:     hidden_group_size_y
      - .offset:         80
        .size:           2
        .value_kind:     hidden_group_size_z
      - .offset:         82
        .size:           2
        .value_kind:     hidden_remainder_x
      - .offset:         84
        .size:           2
        .value_kind:     hidden_remainder_y
      - .offset:         86
        .size:           2
        .value_kind:     hidden_remainder_z
      - .offset:         104
        .size:           8
        .value_kind:     hidden_global_offset_x
      - .offset:         112
        .size:           8
        .value_kind:     hidden_global_offset_y
      - .offset:         120
        .size:           8
        .value_kind:     hidden_global_offset_z
      - .offset:         128
        .size:           2
        .value_kind:     hidden_grid_dims
    .group_segment_fixed_size: 0
    .kernarg_segment_align: 8
    .kernarg_segment_size: 320
    .language:       OpenCL C
    .language_version:
      - 2
      - 0
    .max_flat_workgroup_size: 1024
    .name:           Cat2FwdPacked
    .private_segment_fixed_size: 0
    .sgpr_count:     21
    .sgpr_spill_count: 0
    .symbol:         Cat2FwdPacked.kd
    .uniform_work_group_size: 1
    .uses_dynamic_stack: false
    .vgpr_count:     14
    .vgpr_spill_count: 0
    .wavefront_size: 32
amdhsa.target:   amdgcn-amd-amdhsa--gfx1250
amdhsa.version:
  - 1
  - 2
...

	.end_amdgpu_metadata
